;; amdgpu-corpus repo=ROCm/rocFFT kind=compiled arch=gfx950 opt=O3
	.text
	.amdgcn_target "amdgcn-amd-amdhsa--gfx950"
	.amdhsa_code_object_version 6
	.protected	fft_rtc_back_len1750_factors_2_5_5_7_5_wgs_175_tpt_175_halfLds_dp_ip_CI_unitstride_sbrr_R2C_dirReg ; -- Begin function fft_rtc_back_len1750_factors_2_5_5_7_5_wgs_175_tpt_175_halfLds_dp_ip_CI_unitstride_sbrr_R2C_dirReg
	.globl	fft_rtc_back_len1750_factors_2_5_5_7_5_wgs_175_tpt_175_halfLds_dp_ip_CI_unitstride_sbrr_R2C_dirReg
	.p2align	8
	.type	fft_rtc_back_len1750_factors_2_5_5_7_5_wgs_175_tpt_175_halfLds_dp_ip_CI_unitstride_sbrr_R2C_dirReg,@function
fft_rtc_back_len1750_factors_2_5_5_7_5_wgs_175_tpt_175_halfLds_dp_ip_CI_unitstride_sbrr_R2C_dirReg: ; @fft_rtc_back_len1750_factors_2_5_5_7_5_wgs_175_tpt_175_halfLds_dp_ip_CI_unitstride_sbrr_R2C_dirReg
; %bb.0:
	s_load_dwordx2 s[8:9], s[0:1], 0x50
	s_load_dwordx4 s[4:7], s[0:1], 0x0
	s_load_dwordx2 s[10:11], s[0:1], 0x18
	v_mul_u32_u24_e32 v1, 0x177, v0
	v_add_u32_sdwa v6, s2, v1 dst_sel:DWORD dst_unused:UNUSED_PAD src0_sel:DWORD src1_sel:WORD_1
	v_mov_b32_e32 v4, 0
	s_waitcnt lgkmcnt(0)
	v_cmp_lt_u64_e64 s[2:3], s[6:7], 2
	v_mov_b32_e32 v7, v4
	s_and_b64 vcc, exec, s[2:3]
	v_mov_b64_e32 v[2:3], 0
	s_cbranch_vccnz .LBB0_8
; %bb.1:
	s_load_dwordx2 s[2:3], s[0:1], 0x10
	s_add_u32 s12, s10, 8
	s_addc_u32 s13, s11, 0
	s_mov_b64 s[14:15], 1
	v_mov_b64_e32 v[2:3], 0
	s_waitcnt lgkmcnt(0)
	s_add_u32 s16, s2, 8
	s_addc_u32 s17, s3, 0
.LBB0_2:                                ; =>This Inner Loop Header: Depth=1
	s_load_dwordx2 s[18:19], s[16:17], 0x0
                                        ; implicit-def: $vgpr8_vgpr9
	s_waitcnt lgkmcnt(0)
	v_or_b32_e32 v5, s19, v7
	v_cmp_ne_u64_e32 vcc, 0, v[4:5]
	s_and_saveexec_b64 s[2:3], vcc
	s_xor_b64 s[20:21], exec, s[2:3]
	s_cbranch_execz .LBB0_4
; %bb.3:                                ;   in Loop: Header=BB0_2 Depth=1
	v_cvt_f32_u32_e32 v1, s18
	v_cvt_f32_u32_e32 v5, s19
	s_sub_u32 s2, 0, s18
	s_subb_u32 s3, 0, s19
	v_fmac_f32_e32 v1, 0x4f800000, v5
	v_rcp_f32_e32 v1, v1
	s_nop 0
	v_mul_f32_e32 v1, 0x5f7ffffc, v1
	v_mul_f32_e32 v5, 0x2f800000, v1
	v_trunc_f32_e32 v5, v5
	v_fmac_f32_e32 v1, 0xcf800000, v5
	v_cvt_u32_f32_e32 v5, v5
	v_cvt_u32_f32_e32 v1, v1
	v_mul_lo_u32 v8, s2, v5
	v_mul_hi_u32 v10, s2, v1
	v_mul_lo_u32 v9, s3, v1
	v_add_u32_e32 v10, v10, v8
	v_mul_lo_u32 v12, s2, v1
	v_add_u32_e32 v13, v10, v9
	v_mul_hi_u32 v8, v1, v12
	v_mul_hi_u32 v11, v1, v13
	v_mul_lo_u32 v10, v1, v13
	v_mov_b32_e32 v9, v4
	v_lshl_add_u64 v[8:9], v[8:9], 0, v[10:11]
	v_mul_hi_u32 v11, v5, v12
	v_mul_lo_u32 v12, v5, v12
	v_add_co_u32_e32 v8, vcc, v8, v12
	v_mul_hi_u32 v10, v5, v13
	s_nop 0
	v_addc_co_u32_e32 v8, vcc, v9, v11, vcc
	v_mov_b32_e32 v9, v4
	s_nop 0
	v_addc_co_u32_e32 v11, vcc, 0, v10, vcc
	v_mul_lo_u32 v10, v5, v13
	v_lshl_add_u64 v[8:9], v[8:9], 0, v[10:11]
	v_add_co_u32_e32 v1, vcc, v1, v8
	v_mul_lo_u32 v10, s2, v1
	s_nop 0
	v_addc_co_u32_e32 v5, vcc, v5, v9, vcc
	v_mul_lo_u32 v8, s2, v5
	v_mul_hi_u32 v9, s2, v1
	v_add_u32_e32 v8, v9, v8
	v_mul_lo_u32 v9, s3, v1
	v_add_u32_e32 v12, v8, v9
	v_mul_hi_u32 v14, v5, v10
	v_mul_lo_u32 v15, v5, v10
	v_mul_hi_u32 v9, v1, v12
	v_mul_lo_u32 v8, v1, v12
	v_mul_hi_u32 v10, v1, v10
	v_mov_b32_e32 v11, v4
	v_lshl_add_u64 v[8:9], v[10:11], 0, v[8:9]
	v_add_co_u32_e32 v8, vcc, v8, v15
	v_mul_hi_u32 v13, v5, v12
	s_nop 0
	v_addc_co_u32_e32 v8, vcc, v9, v14, vcc
	v_mul_lo_u32 v10, v5, v12
	s_nop 0
	v_addc_co_u32_e32 v11, vcc, 0, v13, vcc
	v_mov_b32_e32 v9, v4
	v_lshl_add_u64 v[8:9], v[8:9], 0, v[10:11]
	v_add_co_u32_e32 v1, vcc, v1, v8
	v_mul_hi_u32 v10, v6, v1
	s_nop 0
	v_addc_co_u32_e32 v5, vcc, v5, v9, vcc
	v_mad_u64_u32 v[8:9], s[2:3], v6, v5, 0
	v_mov_b32_e32 v11, v4
	v_lshl_add_u64 v[8:9], v[10:11], 0, v[8:9]
	v_mad_u64_u32 v[12:13], s[2:3], v7, v1, 0
	v_add_co_u32_e32 v1, vcc, v8, v12
	v_mad_u64_u32 v[10:11], s[2:3], v7, v5, 0
	s_nop 0
	v_addc_co_u32_e32 v8, vcc, v9, v13, vcc
	v_mov_b32_e32 v9, v4
	s_nop 0
	v_addc_co_u32_e32 v11, vcc, 0, v11, vcc
	v_lshl_add_u64 v[8:9], v[8:9], 0, v[10:11]
	v_mul_lo_u32 v1, s19, v8
	v_mul_lo_u32 v5, s18, v9
	v_mad_u64_u32 v[10:11], s[2:3], s18, v8, 0
	v_add3_u32 v1, v11, v5, v1
	v_sub_u32_e32 v5, v7, v1
	v_mov_b32_e32 v11, s19
	v_sub_co_u32_e32 v14, vcc, v6, v10
	v_lshl_add_u64 v[12:13], v[8:9], 0, 1
	s_nop 0
	v_subb_co_u32_e64 v5, s[2:3], v5, v11, vcc
	v_subrev_co_u32_e64 v10, s[2:3], s18, v14
	v_subb_co_u32_e32 v1, vcc, v7, v1, vcc
	s_nop 0
	v_subbrev_co_u32_e64 v5, s[2:3], 0, v5, s[2:3]
	v_cmp_le_u32_e64 s[2:3], s19, v5
	v_cmp_le_u32_e32 vcc, s19, v1
	s_nop 0
	v_cndmask_b32_e64 v11, 0, -1, s[2:3]
	v_cmp_le_u32_e64 s[2:3], s18, v10
	s_nop 1
	v_cndmask_b32_e64 v10, 0, -1, s[2:3]
	v_cmp_eq_u32_e64 s[2:3], s19, v5
	s_nop 1
	v_cndmask_b32_e64 v5, v11, v10, s[2:3]
	v_lshl_add_u64 v[10:11], v[8:9], 0, 2
	v_cmp_ne_u32_e64 s[2:3], 0, v5
	s_nop 1
	v_cndmask_b32_e64 v5, v13, v11, s[2:3]
	v_cndmask_b32_e64 v11, 0, -1, vcc
	v_cmp_le_u32_e32 vcc, s18, v14
	s_nop 1
	v_cndmask_b32_e64 v13, 0, -1, vcc
	v_cmp_eq_u32_e32 vcc, s19, v1
	s_nop 1
	v_cndmask_b32_e32 v1, v11, v13, vcc
	v_cmp_ne_u32_e32 vcc, 0, v1
	v_cndmask_b32_e64 v1, v12, v10, s[2:3]
	s_nop 0
	v_cndmask_b32_e32 v9, v9, v5, vcc
	v_cndmask_b32_e32 v8, v8, v1, vcc
.LBB0_4:                                ;   in Loop: Header=BB0_2 Depth=1
	s_andn2_saveexec_b64 s[2:3], s[20:21]
	s_cbranch_execz .LBB0_6
; %bb.5:                                ;   in Loop: Header=BB0_2 Depth=1
	v_cvt_f32_u32_e32 v1, s18
	s_sub_i32 s20, 0, s18
	v_rcp_iflag_f32_e32 v1, v1
	s_nop 0
	v_mul_f32_e32 v1, 0x4f7ffffe, v1
	v_cvt_u32_f32_e32 v1, v1
	v_mul_lo_u32 v5, s20, v1
	v_mul_hi_u32 v5, v1, v5
	v_add_u32_e32 v1, v1, v5
	v_mul_hi_u32 v1, v6, v1
	v_mul_lo_u32 v5, v1, s18
	v_sub_u32_e32 v5, v6, v5
	v_add_u32_e32 v8, 1, v1
	v_subrev_u32_e32 v9, s18, v5
	v_cmp_le_u32_e32 vcc, s18, v5
	s_nop 1
	v_cndmask_b32_e32 v5, v5, v9, vcc
	v_cndmask_b32_e32 v1, v1, v8, vcc
	v_add_u32_e32 v8, 1, v1
	v_cmp_le_u32_e32 vcc, s18, v5
	v_mov_b32_e32 v9, v4
	s_nop 0
	v_cndmask_b32_e32 v8, v1, v8, vcc
.LBB0_6:                                ;   in Loop: Header=BB0_2 Depth=1
	s_or_b64 exec, exec, s[2:3]
	v_mad_u64_u32 v[10:11], s[2:3], v8, s18, 0
	s_load_dwordx2 s[2:3], s[12:13], 0x0
	v_mul_lo_u32 v1, v9, s18
	v_mul_lo_u32 v5, v8, s19
	v_add3_u32 v1, v11, v5, v1
	v_sub_co_u32_e32 v5, vcc, v6, v10
	s_add_u32 s14, s14, 1
	s_nop 0
	v_subb_co_u32_e32 v1, vcc, v7, v1, vcc
	s_addc_u32 s15, s15, 0
	s_waitcnt lgkmcnt(0)
	v_mul_lo_u32 v1, s2, v1
	v_mul_lo_u32 v6, s3, v5
	v_mad_u64_u32 v[2:3], s[2:3], s2, v5, v[2:3]
	s_add_u32 s12, s12, 8
	v_add3_u32 v3, v6, v3, v1
	s_addc_u32 s13, s13, 0
	v_mov_b64_e32 v[6:7], s[6:7]
	s_add_u32 s16, s16, 8
	v_cmp_ge_u64_e32 vcc, s[14:15], v[6:7]
	s_addc_u32 s17, s17, 0
	s_cbranch_vccnz .LBB0_9
; %bb.7:                                ;   in Loop: Header=BB0_2 Depth=1
	v_mov_b64_e32 v[6:7], v[8:9]
	s_branch .LBB0_2
.LBB0_8:
	v_mov_b64_e32 v[8:9], v[6:7]
.LBB0_9:
	s_lshl_b64 s[2:3], s[6:7], 3
	s_add_u32 s2, s10, s2
	s_addc_u32 s3, s11, s3
	s_load_dwordx2 s[6:7], s[2:3], 0x0
	s_load_dwordx2 s[10:11], s[0:1], 0x20
	s_mov_b32 s2, 0x1767dcf
                                        ; implicit-def: $vgpr60
                                        ; implicit-def: $vgpr64
                                        ; implicit-def: $vgpr62
	s_waitcnt lgkmcnt(0)
	v_mul_lo_u32 v1, s6, v9
	v_mul_lo_u32 v4, s7, v8
	v_mad_u64_u32 v[2:3], s[0:1], s6, v8, v[2:3]
	v_add3_u32 v3, v4, v3, v1
	v_mul_hi_u32 v1, v0, s2
	v_mul_u32_u24_e32 v1, 0xaf, v1
	v_cmp_gt_u64_e64 s[0:1], s[10:11], v[8:9]
	v_cmp_le_u64_e32 vcc, s[10:11], v[8:9]
	v_sub_u32_e32 v56, v0, v1
	s_and_saveexec_b64 s[2:3], vcc
	s_xor_b64 s[2:3], exec, s[2:3]
; %bb.10:
	v_add_u32_e32 v60, 0xaf, v56
	v_add_u32_e32 v64, 0x15e, v56
	;; [unrolled: 1-line block ×3, first 2 shown]
; %bb.11:
	s_or_saveexec_b64 s[2:3], s[2:3]
	v_lshl_add_u64 v[58:59], v[2:3], 4, s[8:9]
	s_xor_b64 exec, exec, s[2:3]
	s_cbranch_execz .LBB0_13
; %bb.12:
	v_mov_b32_e32 v57, 0
	v_lshl_add_u64 v[32:33], v[56:57], 4, v[58:59]
	v_add_co_u32_e32 v16, vcc, 0x1000, v32
	global_load_dwordx4 v[0:3], v[32:33], off
	global_load_dwordx4 v[4:7], v[32:33], off offset:2800
	v_addc_co_u32_e32 v17, vcc, 0, v33, vcc
	v_add_co_u32_e32 v24, vcc, 0x2000, v32
	v_add_u32_e32 v60, 0xaf, v56
	s_nop 0
	v_addc_co_u32_e32 v25, vcc, 0, v33, vcc
	v_add_co_u32_e32 v26, vcc, 0x3000, v32
	global_load_dwordx4 v[8:11], v[16:17], off offset:1504
	global_load_dwordx4 v[12:15], v[24:25], off offset:208
	v_addc_co_u32_e32 v27, vcc, 0, v33, vcc
	v_add_co_u32_e32 v34, vcc, 0x4000, v32
	global_load_dwordx4 v[16:19], v[24:25], off offset:3008
	global_load_dwordx4 v[20:23], v[26:27], off offset:1712
	;; [unrolled: 4-line block ×3, first 2 shown]
	v_addc_co_u32_e32 v41, vcc, 0, v33, vcc
	v_add_co_u32_e32 v42, vcc, 0x6000, v32
	v_add_u32_e32 v64, 0x15e, v56
	s_nop 0
	v_addc_co_u32_e32 v43, vcc, 0, v33, vcc
	global_load_dwordx4 v[32:35], v[40:41], off offset:1920
	global_load_dwordx4 v[36:39], v[42:43], off offset:624
	v_lshl_add_u32 v40, v56, 4, 0
	v_add_u32_e32 v62, 0x2bc, v56
	s_waitcnt vmcnt(9)
	ds_write_b128 v40, v[0:3]
	s_waitcnt vmcnt(8)
	ds_write_b128 v40, v[4:7] offset:2800
	s_waitcnt vmcnt(7)
	ds_write_b128 v40, v[8:11] offset:5600
	;; [unrolled: 2-line block ×9, first 2 shown]
.LBB0_13:
	s_or_b64 exec, exec, s[2:3]
	v_lshlrev_b32_e32 v57, 4, v56
	v_add_u32_e32 v66, 0, v57
	s_waitcnt lgkmcnt(0)
	s_barrier
	ds_read_b128 v[0:3], v66 offset:14000
	ds_read_b128 v[4:7], v66
	ds_read_b128 v[8:11], v66 offset:2800
	ds_read_b128 v[12:15], v66 offset:16800
	;; [unrolled: 1-line block ×8, first 2 shown]
	s_waitcnt lgkmcnt(8)
	v_add_f64 v[0:1], v[4:5], -v[0:1]
	v_add_f64 v[2:3], v[6:7], -v[2:3]
	v_fma_f64 v[4:5], v[4:5], 2.0, -v[0:1]
	v_fma_f64 v[6:7], v[6:7], 2.0, -v[2:3]
	s_waitcnt lgkmcnt(6)
	v_add_f64 v[12:13], v[8:9], -v[12:13]
	v_add_f64 v[14:15], v[10:11], -v[14:15]
	s_waitcnt lgkmcnt(4)
	v_add_f64 v[16:17], v[20:21], -v[16:17]
	v_add_f64 v[18:19], v[22:23], -v[18:19]
	;; [unrolled: 3-line block ×3, first 2 shown]
	v_add_u32_e32 v40, v66, v57
	v_and_b32_e32 v43, 1, v56
	v_fma_f64 v[8:9], v[8:9], 2.0, -v[12:13]
	v_fma_f64 v[10:11], v[10:11], 2.0, -v[14:15]
	;; [unrolled: 1-line block ×4, first 2 shown]
	v_add_f64 v[32:33], v[24:25], -v[32:33]
	v_add_f64 v[34:35], v[26:27], -v[34:35]
	v_fma_f64 v[28:29], v[28:29], 2.0, -v[36:37]
	v_fma_f64 v[30:31], v[30:31], 2.0, -v[38:39]
	s_barrier
	ds_write_b128 v40, v[4:7]
	ds_write_b128 v40, v[0:3] offset:16
	v_lshl_add_u32 v65, v60, 5, 0
	v_lshl_add_u32 v61, v64, 5, 0
	;; [unrolled: 1-line block ×3, first 2 shown]
	v_lshlrev_b32_e32 v0, 6, v43
	v_fma_f64 v[24:25], v[24:25], 2.0, -v[32:33]
	v_fma_f64 v[26:27], v[26:27], 2.0, -v[34:35]
	ds_write_b128 v65, v[8:11]
	ds_write_b128 v65, v[12:15] offset:16
	ds_write_b128 v61, v[20:23]
	ds_write_b128 v61, v[16:19] offset:16
	ds_write_b128 v40, v[24:27] offset:16800
	;; [unrolled: 1-line block ×3, first 2 shown]
	ds_write_b128 v63, v[28:31]
	ds_write_b128 v63, v[36:39] offset:16
	s_waitcnt lgkmcnt(0)
	s_barrier
	global_load_dwordx4 v[4:7], v0, s[4:5]
	global_load_dwordx4 v[8:11], v0, s[4:5] offset:16
	global_load_dwordx4 v[12:15], v0, s[4:5] offset:32
	;; [unrolled: 1-line block ×3, first 2 shown]
	v_and_b32_e32 v82, 1, v60
	v_lshlrev_b32_e32 v0, 6, v82
	global_load_dwordx4 v[20:23], v0, s[4:5]
	global_load_dwordx4 v[44:47], v0, s[4:5] offset:16
	global_load_dwordx4 v[48:51], v0, s[4:5] offset:32
	;; [unrolled: 1-line block ×3, first 2 shown]
	v_lshlrev_b32_e32 v68, 4, v64
	v_lshlrev_b32_e32 v69, 4, v62
	;; [unrolled: 1-line block ×3, first 2 shown]
	v_sub_u32_e32 v40, v61, v68
	v_sub_u32_e32 v41, v63, v69
	;; [unrolled: 1-line block ×3, first 2 shown]
	ds_read_b128 v[24:27], v40
	ds_read_b128 v[36:39], v41
	;; [unrolled: 1-line block ×3, first 2 shown]
	ds_read_b128 v[70:73], v66 offset:25200
	ds_read_b128 v[74:77], v66 offset:16800
	;; [unrolled: 1-line block ×3, first 2 shown]
	s_mov_b32 s6, 0x134454ff
	s_mov_b32 s7, 0xbfee6f0e
	;; [unrolled: 1-line block ×10, first 2 shown]
	s_movk_i32 s14, 0xcd
	s_waitcnt vmcnt(7) lgkmcnt(5)
	v_mul_f64 v[30:31], v[26:27], v[6:7]
	v_mul_f64 v[6:7], v[24:25], v[6:7]
	v_fmac_f64_e32 v[30:31], v[24:25], v[4:5]
	v_fma_f64 v[24:25], v[26:27], v[4:5], -v[6:7]
	ds_read_b128 v[4:7], v66 offset:22400
	s_waitcnt vmcnt(6) lgkmcnt(5)
	v_mul_f64 v[32:33], v[38:39], v[10:11]
	v_mul_f64 v[10:11], v[36:37], v[10:11]
	v_fmac_f64_e32 v[32:33], v[36:37], v[8:9]
	v_fma_f64 v[26:27], v[38:39], v[8:9], -v[10:11]
	ds_read_b128 v[8:11], v66 offset:8400
	;; [unrolled: 6-line block ×3, first 2 shown]
	s_waitcnt vmcnt(4) lgkmcnt(2)
	v_mul_f64 v[38:39], v[6:7], v[18:19]
	v_mul_f64 v[12:13], v[4:5], v[18:19]
	v_fmac_f64_e32 v[38:39], v[4:5], v[16:17]
	v_fma_f64 v[36:37], v[6:7], v[16:17], -v[12:13]
	ds_read_b128 v[4:7], v66
	s_waitcnt vmcnt(3) lgkmcnt(2)
	v_mul_f64 v[14:15], v[10:11], v[22:23]
	v_fmac_f64_e32 v[14:15], v[8:9], v[20:21]
	v_mul_f64 v[8:9], v[8:9], v[22:23]
	v_fma_f64 v[8:9], v[10:11], v[20:21], -v[8:9]
	s_waitcnt vmcnt(2)
	v_mul_f64 v[18:19], v[80:81], v[46:47]
	v_mul_f64 v[10:11], v[78:79], v[46:47]
	s_waitcnt vmcnt(1) lgkmcnt(1)
	v_mul_f64 v[20:21], v[76:77], v[50:51]
	v_mul_f64 v[12:13], v[74:75], v[50:51]
	v_fmac_f64_e32 v[18:19], v[78:79], v[44:45]
	v_fma_f64 v[10:11], v[80:81], v[44:45], -v[10:11]
	v_fmac_f64_e32 v[20:21], v[74:75], v[48:49]
	v_fma_f64 v[12:13], v[76:77], v[48:49], -v[12:13]
	s_waitcnt lgkmcnt(0)
	v_add_f64 v[44:45], v[4:5], v[30:31]
	v_add_f64 v[46:47], v[6:7], v[24:25]
	v_lshrrev_b32_e32 v48, 1, v56
	v_add_f64 v[44:45], v[44:45], v[32:33]
	v_add_f64 v[46:47], v[46:47], v[26:27]
	v_mul_u32_u24_e32 v48, 10, v48
	v_add_f64 v[44:45], v[44:45], v[34:35]
	v_add_f64 v[46:47], v[46:47], v[28:29]
	v_or_b32_e32 v43, v48, v43
	v_add_f64 v[44:45], v[44:45], v[38:39]
	v_add_f64 v[46:47], v[46:47], v[36:37]
	v_lshl_add_u32 v43, v43, 4, 0
	s_barrier
	ds_write_b128 v43, v[44:47]
	v_add_f64 v[44:45], v[30:31], -v[32:33]
	v_add_f64 v[46:47], v[38:39], -v[34:35]
	v_add_f64 v[46:47], v[44:45], v[46:47]
	v_add_f64 v[44:45], v[32:33], v[34:35]
	v_fma_f64 v[44:45], -0.5, v[44:45], v[4:5]
	v_add_f64 v[50:51], v[24:25], -v[36:37]
	s_waitcnt vmcnt(0)
	v_mul_f64 v[22:23], v[72:73], v[54:55]
	v_mul_f64 v[16:17], v[70:71], v[54:55]
	v_add_f64 v[54:55], v[26:27], -v[28:29]
	v_fma_f64 v[48:49], s[6:7], v[50:51], v[44:45]
	v_fmac_f64_e32 v[44:45], s[10:11], v[50:51]
	v_fmac_f64_e32 v[48:49], s[2:3], v[54:55]
	;; [unrolled: 1-line block ×5, first 2 shown]
	v_add_f64 v[46:47], v[30:31], v[38:39]
	v_fmac_f64_e32 v[22:23], v[70:71], v[52:53]
	v_fma_f64 v[16:17], v[72:73], v[52:53], -v[16:17]
	v_fmac_f64_e32 v[4:5], -0.5, v[46:47]
	v_add_f64 v[46:47], v[32:33], -v[30:31]
	v_add_f64 v[52:53], v[34:35], -v[38:39]
	v_add_f64 v[46:47], v[46:47], v[52:53]
	v_fma_f64 v[52:53], s[10:11], v[54:55], v[4:5]
	v_fmac_f64_e32 v[4:5], s[6:7], v[54:55]
	v_fmac_f64_e32 v[52:53], s[2:3], v[50:51]
	;; [unrolled: 1-line block ×5, first 2 shown]
	v_add_f64 v[46:47], v[26:27], v[28:29]
	v_fma_f64 v[46:47], -0.5, v[46:47], v[6:7]
	v_add_f64 v[30:31], v[30:31], -v[38:39]
	v_add_f64 v[32:33], v[32:33], -v[34:35]
	;; [unrolled: 1-line block ×4, first 2 shown]
	v_fma_f64 v[50:51], s[10:11], v[30:31], v[46:47]
	v_fmac_f64_e32 v[46:47], s[6:7], v[30:31]
	v_add_f64 v[34:35], v[34:35], v[38:39]
	v_fmac_f64_e32 v[50:51], s[12:13], v[32:33]
	v_fmac_f64_e32 v[46:47], s[2:3], v[32:33]
	;; [unrolled: 1-line block ×4, first 2 shown]
	v_add_f64 v[34:35], v[24:25], v[36:37]
	v_fmac_f64_e32 v[6:7], -0.5, v[34:35]
	v_add_f64 v[24:25], v[26:27], -v[24:25]
	v_add_f64 v[26:27], v[28:29], -v[36:37]
	v_fma_f64 v[54:55], s[6:7], v[32:33], v[6:7]
	v_fmac_f64_e32 v[6:7], s[10:11], v[32:33]
	v_add_f64 v[24:25], v[24:25], v[26:27]
	v_fmac_f64_e32 v[54:55], s[12:13], v[30:31]
	v_fmac_f64_e32 v[6:7], s[2:3], v[30:31]
	;; [unrolled: 1-line block ×4, first 2 shown]
	v_add_f64 v[24:25], v[14:15], -v[18:19]
	v_add_f64 v[26:27], v[22:23], -v[20:21]
	v_add_f64 v[26:27], v[24:25], v[26:27]
	v_add_f64 v[24:25], v[18:19], v[20:21]
	v_fma_f64 v[24:25], -0.5, v[24:25], v[0:1]
	v_add_f64 v[30:31], v[8:9], -v[16:17]
	v_add_f64 v[34:35], v[10:11], -v[12:13]
	v_fma_f64 v[28:29], s[6:7], v[30:31], v[24:25]
	v_fmac_f64_e32 v[24:25], s[10:11], v[30:31]
	v_fmac_f64_e32 v[28:29], s[2:3], v[34:35]
	;; [unrolled: 1-line block ×3, first 2 shown]
	v_add_f64 v[32:33], v[14:15], v[22:23]
	v_fmac_f64_e32 v[28:29], s[8:9], v[26:27]
	v_fmac_f64_e32 v[24:25], s[8:9], v[26:27]
	v_add_f64 v[26:27], v[0:1], v[14:15]
	v_fmac_f64_e32 v[0:1], -0.5, v[32:33]
	v_add_f64 v[32:33], v[18:19], -v[14:15]
	v_add_f64 v[36:37], v[20:21], -v[22:23]
	v_add_f64 v[36:37], v[32:33], v[36:37]
	v_fma_f64 v[32:33], s[10:11], v[34:35], v[0:1]
	v_fmac_f64_e32 v[0:1], s[6:7], v[34:35]
	v_add_f64 v[26:27], v[26:27], v[18:19]
	v_fmac_f64_e32 v[32:33], s[2:3], v[30:31]
	v_fmac_f64_e32 v[0:1], s[12:13], v[30:31]
	v_add_f64 v[26:27], v[26:27], v[20:21]
	v_add_f64 v[30:31], v[2:3], v[8:9]
	v_fmac_f64_e32 v[32:33], s[8:9], v[36:37]
	v_fmac_f64_e32 v[0:1], s[8:9], v[36:37]
	v_add_f64 v[30:31], v[30:31], v[10:11]
	v_add_f64 v[36:37], v[26:27], v[22:23]
	v_add_f64 v[26:27], v[10:11], v[12:13]
	v_add_f64 v[30:31], v[30:31], v[12:13]
	v_fma_f64 v[26:27], -0.5, v[26:27], v[2:3]
	v_add_f64 v[14:15], v[14:15], -v[22:23]
	v_add_f64 v[38:39], v[30:31], v[16:17]
	v_add_f64 v[18:19], v[18:19], -v[20:21]
	v_add_f64 v[20:21], v[8:9], -v[10:11]
	;; [unrolled: 1-line block ×3, first 2 shown]
	v_fma_f64 v[30:31], s[10:11], v[14:15], v[26:27]
	v_fmac_f64_e32 v[26:27], s[6:7], v[14:15]
	v_add_f64 v[20:21], v[20:21], v[22:23]
	v_fmac_f64_e32 v[30:31], s[12:13], v[18:19]
	v_fmac_f64_e32 v[26:27], s[2:3], v[18:19]
	;; [unrolled: 1-line block ×4, first 2 shown]
	v_add_f64 v[20:21], v[8:9], v[16:17]
	ds_write_b128 v43, v[48:51] offset:32
	ds_write_b128 v43, v[52:55] offset:64
	;; [unrolled: 1-line block ×4, first 2 shown]
	v_lshrrev_b32_e32 v4, 1, v60
	v_fmac_f64_e32 v[2:3], -0.5, v[20:21]
	v_mul_lo_u32 v4, v4, 10
	v_add_f64 v[8:9], v[10:11], -v[8:9]
	v_add_f64 v[10:11], v[12:13], -v[16:17]
	v_fma_f64 v[34:35], s[6:7], v[18:19], v[2:3]
	v_fmac_f64_e32 v[2:3], s[10:11], v[18:19]
	v_or_b32_e32 v4, v4, v82
	v_add_f64 v[8:9], v[8:9], v[10:11]
	v_fmac_f64_e32 v[34:35], s[12:13], v[14:15]
	v_fmac_f64_e32 v[2:3], s[2:3], v[14:15]
	v_lshl_add_u32 v4, v4, 4, 0
	v_fmac_f64_e32 v[34:35], s[8:9], v[8:9]
	v_fmac_f64_e32 v[2:3], s[8:9], v[8:9]
	ds_write_b128 v4, v[36:39]
	ds_write_b128 v4, v[28:31] offset:32
	ds_write_b128 v4, v[32:35] offset:64
	;; [unrolled: 1-line block ×4, first 2 shown]
	v_mul_lo_u16_sdwa v0, v56, s14 dst_sel:DWORD dst_unused:UNUSED_PAD src0_sel:BYTE_0 src1_sel:DWORD
	v_lshrrev_b16_e32 v71, 11, v0
	v_mul_lo_u16_e32 v0, 10, v71
	v_sub_u16_e32 v80, v56, v0
	v_mov_b32_e32 v70, 6
	v_lshlrev_b32_sdwa v0, v70, v80 dst_sel:DWORD dst_unused:UNUSED_PAD src0_sel:DWORD src1_sel:BYTE_0
	s_waitcnt lgkmcnt(0)
	s_barrier
	global_load_dwordx4 v[4:7], v0, s[4:5] offset:128
	global_load_dwordx4 v[12:15], v0, s[4:5] offset:144
	;; [unrolled: 1-line block ×4, first 2 shown]
	s_mov_b32 s14, 0xcccd
	v_mul_u32_u24_sdwa v0, v60, s14 dst_sel:DWORD dst_unused:UNUSED_PAD src0_sel:WORD_0 src1_sel:DWORD
	v_lshrrev_b32_e32 v81, 19, v0
	v_mul_lo_u16_e32 v0, 10, v81
	v_sub_u16_e32 v82, v60, v0
	v_lshlrev_b32_e32 v0, 6, v82
	global_load_dwordx4 v[24:27], v0, s[4:5] offset:128
	global_load_dwordx4 v[44:47], v0, s[4:5] offset:144
	;; [unrolled: 1-line block ×4, first 2 shown]
	ds_read_b128 v[28:31], v40
	ds_read_b128 v[34:37], v41
	;; [unrolled: 1-line block ×3, first 2 shown]
	ds_read_b128 v[40:43], v66 offset:25200
	s_waitcnt vmcnt(7) lgkmcnt(3)
	v_mul_f64 v[10:11], v[30:31], v[6:7]
	v_mul_f64 v[6:7], v[28:29], v[6:7]
	v_fmac_f64_e32 v[10:11], v[28:29], v[4:5]
	v_fma_f64 v[4:5], v[30:31], v[4:5], -v[6:7]
	s_waitcnt vmcnt(6) lgkmcnt(2)
	v_mul_f64 v[32:33], v[36:37], v[14:15]
	v_mul_f64 v[6:7], v[34:35], v[14:15]
	ds_read_b128 v[28:31], v66 offset:16800
	ds_read_b128 v[72:75], v66 offset:14000
	v_fmac_f64_e32 v[32:33], v[34:35], v[12:13]
	v_fma_f64 v[8:9], v[36:37], v[12:13], -v[6:7]
	ds_read_b128 v[12:15], v66 offset:22400
	ds_read_b128 v[76:79], v66 offset:19600
	s_waitcnt vmcnt(5) lgkmcnt(3)
	v_mul_f64 v[36:37], v[30:31], v[18:19]
	v_mul_f64 v[6:7], v[28:29], v[18:19]
	v_fmac_f64_e32 v[36:37], v[28:29], v[16:17]
	v_fma_f64 v[30:31], v[30:31], v[16:17], -v[6:7]
	s_waitcnt vmcnt(4) lgkmcnt(1)
	v_mul_f64 v[38:39], v[14:15], v[22:23]
	ds_read_b128 v[16:19], v66 offset:8400
	v_mul_f64 v[6:7], v[12:13], v[22:23]
	v_fmac_f64_e32 v[38:39], v[12:13], v[20:21]
	v_fma_f64 v[34:35], v[14:15], v[20:21], -v[6:7]
	ds_read_b128 v[12:15], v66
	s_waitcnt vmcnt(3) lgkmcnt(1)
	v_mul_f64 v[20:21], v[18:19], v[26:27]
	v_mul_f64 v[6:7], v[16:17], v[26:27]
	s_waitcnt vmcnt(0)
	v_mul_f64 v[28:29], v[42:43], v[54:55]
	v_mul_f64 v[22:23], v[40:41], v[54:55]
	v_fmac_f64_e32 v[20:21], v[16:17], v[24:25]
	v_fma_f64 v[6:7], v[18:19], v[24:25], -v[6:7]
	v_mul_f64 v[24:25], v[74:75], v[46:47]
	v_mul_f64 v[16:17], v[72:73], v[46:47]
	v_fmac_f64_e32 v[28:29], v[40:41], v[52:53]
	v_fma_f64 v[22:23], v[42:43], v[52:53], -v[22:23]
	s_waitcnt lgkmcnt(0)
	v_add_f64 v[40:41], v[12:13], v[10:11]
	v_add_f64 v[42:43], v[14:15], v[4:5]
	v_fmac_f64_e32 v[24:25], v[72:73], v[44:45]
	v_fma_f64 v[16:17], v[74:75], v[44:45], -v[16:17]
	v_add_f64 v[40:41], v[40:41], v[32:33]
	v_add_f64 v[42:43], v[42:43], v[8:9]
	v_mul_u32_u24_e32 v44, 0x320, v71
	v_mov_b32_e32 v71, 4
	v_add_f64 v[40:41], v[40:41], v[36:37]
	v_add_f64 v[42:43], v[42:43], v[30:31]
	v_lshlrev_b32_sdwa v45, v71, v80 dst_sel:DWORD dst_unused:UNUSED_PAD src0_sel:DWORD src1_sel:BYTE_0
	v_add_f64 v[40:41], v[40:41], v[38:39]
	v_add_f64 v[42:43], v[42:43], v[34:35]
	v_add3_u32 v52, 0, v44, v45
	s_barrier
	ds_write_b128 v52, v[40:43]
	v_add_f64 v[40:41], v[10:11], -v[32:33]
	v_add_f64 v[42:43], v[38:39], -v[36:37]
	v_add_f64 v[42:43], v[40:41], v[42:43]
	v_add_f64 v[40:41], v[32:33], v[36:37]
	v_fma_f64 v[40:41], -0.5, v[40:41], v[12:13]
	v_add_f64 v[46:47], v[4:5], -v[34:35]
	v_mul_f64 v[26:27], v[78:79], v[50:51]
	v_mul_f64 v[18:19], v[76:77], v[50:51]
	v_add_f64 v[50:51], v[8:9], -v[30:31]
	v_fma_f64 v[44:45], s[6:7], v[46:47], v[40:41]
	v_fmac_f64_e32 v[40:41], s[10:11], v[46:47]
	v_fmac_f64_e32 v[44:45], s[2:3], v[50:51]
	;; [unrolled: 1-line block ×5, first 2 shown]
	v_add_f64 v[42:43], v[10:11], v[38:39]
	v_fmac_f64_e32 v[26:27], v[76:77], v[48:49]
	v_fma_f64 v[18:19], v[78:79], v[48:49], -v[18:19]
	v_fmac_f64_e32 v[12:13], -0.5, v[42:43]
	v_add_f64 v[42:43], v[32:33], -v[10:11]
	v_add_f64 v[48:49], v[36:37], -v[38:39]
	v_add_f64 v[42:43], v[42:43], v[48:49]
	v_fma_f64 v[48:49], s[10:11], v[50:51], v[12:13]
	v_fmac_f64_e32 v[12:13], s[6:7], v[50:51]
	v_fmac_f64_e32 v[48:49], s[2:3], v[46:47]
	;; [unrolled: 1-line block ×5, first 2 shown]
	v_add_f64 v[42:43], v[8:9], v[30:31]
	v_fma_f64 v[42:43], -0.5, v[42:43], v[14:15]
	v_add_f64 v[10:11], v[10:11], -v[38:39]
	v_add_f64 v[32:33], v[32:33], -v[36:37]
	;; [unrolled: 1-line block ×4, first 2 shown]
	v_fma_f64 v[46:47], s[10:11], v[10:11], v[42:43]
	v_fmac_f64_e32 v[42:43], s[6:7], v[10:11]
	v_add_f64 v[36:37], v[36:37], v[38:39]
	v_fmac_f64_e32 v[46:47], s[12:13], v[32:33]
	v_fmac_f64_e32 v[42:43], s[2:3], v[32:33]
	;; [unrolled: 1-line block ×4, first 2 shown]
	v_add_f64 v[36:37], v[4:5], v[34:35]
	v_fmac_f64_e32 v[14:15], -0.5, v[36:37]
	v_add_f64 v[4:5], v[8:9], -v[4:5]
	v_add_f64 v[8:9], v[30:31], -v[34:35]
	v_fma_f64 v[50:51], s[6:7], v[32:33], v[14:15]
	v_fmac_f64_e32 v[14:15], s[10:11], v[32:33]
	v_add_f64 v[4:5], v[4:5], v[8:9]
	v_fmac_f64_e32 v[50:51], s[12:13], v[10:11]
	v_fmac_f64_e32 v[14:15], s[2:3], v[10:11]
	;; [unrolled: 1-line block ×4, first 2 shown]
	v_add_f64 v[4:5], v[20:21], -v[24:25]
	v_add_f64 v[8:9], v[28:29], -v[26:27]
	v_add_f64 v[4:5], v[4:5], v[8:9]
	v_add_f64 v[8:9], v[24:25], v[26:27]
	v_fma_f64 v[8:9], -0.5, v[8:9], v[0:1]
	v_add_f64 v[10:11], v[6:7], -v[22:23]
	v_add_f64 v[32:33], v[16:17], -v[18:19]
	v_fma_f64 v[30:31], s[6:7], v[10:11], v[8:9]
	v_fmac_f64_e32 v[8:9], s[10:11], v[10:11]
	v_fmac_f64_e32 v[30:31], s[2:3], v[32:33]
	;; [unrolled: 1-line block ×5, first 2 shown]
	v_add_f64 v[4:5], v[20:21], v[28:29]
	v_add_f64 v[34:35], v[0:1], v[20:21]
	v_fmac_f64_e32 v[0:1], -0.5, v[4:5]
	v_add_f64 v[4:5], v[24:25], -v[20:21]
	v_add_f64 v[36:37], v[26:27], -v[28:29]
	v_add_f64 v[36:37], v[4:5], v[36:37]
	v_fma_f64 v[4:5], s[10:11], v[32:33], v[0:1]
	v_fmac_f64_e32 v[0:1], s[6:7], v[32:33]
	v_fmac_f64_e32 v[4:5], s[2:3], v[10:11]
	;; [unrolled: 1-line block ×3, first 2 shown]
	v_add_f64 v[10:11], v[34:35], v[24:25]
	v_add_f64 v[10:11], v[10:11], v[26:27]
	;; [unrolled: 1-line block ×7, first 2 shown]
	v_fma_f64 v[10:11], -0.5, v[10:11], v[2:3]
	v_add_f64 v[20:21], v[20:21], -v[28:29]
	v_fmac_f64_e32 v[4:5], s[8:9], v[36:37]
	v_fmac_f64_e32 v[0:1], s[8:9], v[36:37]
	v_add_f64 v[36:37], v[32:33], v[22:23]
	v_add_f64 v[24:25], v[24:25], -v[26:27]
	v_add_f64 v[26:27], v[6:7], -v[16:17]
	;; [unrolled: 1-line block ×3, first 2 shown]
	v_fma_f64 v[32:33], s[10:11], v[20:21], v[10:11]
	v_fmac_f64_e32 v[10:11], s[6:7], v[20:21]
	v_add_f64 v[26:27], v[26:27], v[28:29]
	v_fmac_f64_e32 v[32:33], s[12:13], v[24:25]
	v_fmac_f64_e32 v[10:11], s[2:3], v[24:25]
	;; [unrolled: 1-line block ×4, first 2 shown]
	v_add_f64 v[26:27], v[6:7], v[22:23]
	v_fmac_f64_e32 v[2:3], -0.5, v[26:27]
	v_add_f64 v[6:7], v[16:17], -v[6:7]
	v_add_f64 v[16:17], v[18:19], -v[22:23]
	v_add_f64 v[16:17], v[6:7], v[16:17]
	v_fma_f64 v[6:7], s[6:7], v[24:25], v[2:3]
	v_fmac_f64_e32 v[2:3], s[10:11], v[24:25]
	ds_write_b128 v52, v[44:47] offset:160
	ds_write_b128 v52, v[48:51] offset:320
	;; [unrolled: 1-line block ×4, first 2 shown]
	v_mul_u32_u24_e32 v12, 0x320, v81
	v_lshlrev_b32_e32 v13, 4, v82
	v_fmac_f64_e32 v[6:7], s[12:13], v[20:21]
	v_fmac_f64_e32 v[2:3], s[2:3], v[20:21]
	v_add3_u32 v12, 0, v12, v13
	v_fmac_f64_e32 v[6:7], s[8:9], v[16:17]
	v_fmac_f64_e32 v[2:3], s[8:9], v[16:17]
	ds_write_b128 v12, v[34:37]
	ds_write_b128 v12, v[30:33] offset:160
	ds_write_b128 v12, v[4:7] offset:320
	;; [unrolled: 1-line block ×4, first 2 shown]
	s_waitcnt lgkmcnt(0)
	s_barrier
	ds_read_b128 v[28:31], v66
	ds_read_b128 v[52:55], v66 offset:4000
	ds_read_b128 v[48:51], v66 offset:8000
	;; [unrolled: 1-line block ×6, first 2 shown]
	v_sub_u32_e32 v12, 0, v67
	s_movk_i32 s2, 0x4b
	v_cmp_gt_u32_e32 vcc, s2, v56
	v_add_u32_e32 v67, v65, v12
                                        ; implicit-def: $vgpr26_vgpr27
                                        ; implicit-def: $vgpr22_vgpr23
                                        ; implicit-def: $vgpr18_vgpr19
                                        ; implicit-def: $vgpr14_vgpr15
	s_and_saveexec_b64 s[2:3], vcc
	s_cbranch_execz .LBB0_15
; %bb.14:
	ds_read_b128 v[4:7], v67
	ds_read_b128 v[0:3], v66 offset:6800
	ds_read_b128 v[8:11], v66 offset:10800
	;; [unrolled: 1-line block ×6, first 2 shown]
.LBB0_15:
	s_or_b64 exec, exec, s[2:3]
	v_mov_b32_e32 v72, 41
	v_mul_lo_u16_sdwa v65, v56, v72 dst_sel:DWORD dst_unused:UNUSED_PAD src0_sel:BYTE_0 src1_sel:DWORD
	v_lshrrev_b16_e32 v73, 11, v65
	v_mul_lo_u16_e32 v65, 50, v73
	v_sub_u16_e32 v110, v56, v65
	v_mul_u32_u24_sdwa v65, v110, v70 dst_sel:DWORD dst_unused:UNUSED_PAD src0_sel:BYTE_0 src1_sel:DWORD
	v_lshlrev_b32_e32 v65, 4, v65
	global_load_dwordx4 v[74:77], v65, s[4:5] offset:768
	global_load_dwordx4 v[78:81], v65, s[4:5] offset:784
	;; [unrolled: 1-line block ×6, first 2 shown]
	s_mov_b32 s6, 0x37e14327
	s_mov_b32 s8, 0x36b3c0b5
	;; [unrolled: 1-line block ×19, first 2 shown]
	v_sub_u32_e32 v65, 0, v68
	v_sub_u32_e32 v68, 0, v69
	s_mov_b32 s17, 0xbfdc38aa
	v_mul_u32_u24_e32 v69, 0x15e0, v73
	v_lshlrev_b32_sdwa v70, v71, v110 dst_sel:DWORD dst_unused:UNUSED_PAD src0_sel:DWORD src1_sel:BYTE_0
	v_add3_u32 v69, 0, v69, v70
	s_waitcnt lgkmcnt(0)
	s_barrier
	s_waitcnt vmcnt(5)
	v_mul_f64 v[98:99], v[54:55], v[76:77]
	v_mul_f64 v[76:77], v[52:53], v[76:77]
	s_waitcnt vmcnt(4)
	v_mul_f64 v[100:101], v[50:51], v[80:81]
	v_mul_f64 v[80:81], v[48:49], v[80:81]
	s_waitcnt vmcnt(1)
	v_mul_f64 v[106:107], v[38:39], v[92:93]
	v_mul_f64 v[92:93], v[36:37], v[92:93]
	s_waitcnt vmcnt(0)
	v_mul_f64 v[108:109], v[34:35], v[96:97]
	v_mul_f64 v[96:97], v[32:33], v[96:97]
	v_mul_f64 v[102:103], v[46:47], v[84:85]
	v_mul_f64 v[84:85], v[44:45], v[84:85]
	v_mul_f64 v[104:105], v[42:43], v[88:89]
	v_mul_f64 v[88:89], v[40:41], v[88:89]
	v_fmac_f64_e32 v[98:99], v[52:53], v[74:75]
	v_fma_f64 v[52:53], v[54:55], v[74:75], -v[76:77]
	v_fmac_f64_e32 v[100:101], v[48:49], v[78:79]
	v_fma_f64 v[48:49], v[50:51], v[78:79], -v[80:81]
	;; [unrolled: 2-line block ×6, first 2 shown]
	v_add_f64 v[34:35], v[98:99], v[108:109]
	v_add_f64 v[38:39], v[52:53], v[32:33]
	;; [unrolled: 1-line block ×4, first 2 shown]
	v_add_f64 v[36:37], v[48:49], -v[36:37]
	v_add_f64 v[48:49], v[102:103], v[104:105]
	v_add_f64 v[54:55], v[44:45], v[40:41]
	v_add_f64 v[40:41], v[40:41], -v[44:45]
	v_add_f64 v[44:45], v[46:47], v[34:35]
	v_add_f64 v[76:77], v[50:51], v[38:39]
	v_add_f64 v[42:43], v[98:99], -v[108:109]
	v_add_f64 v[32:33], v[52:53], -v[32:33]
	;; [unrolled: 1-line block ×7, first 2 shown]
	v_add_f64 v[44:45], v[48:49], v[44:45]
	v_add_f64 v[48:49], v[54:55], v[76:77]
	v_add_f64 v[80:81], v[50:51], -v[38:39]
	v_add_f64 v[38:39], v[38:39], -v[54:55]
	;; [unrolled: 1-line block ×3, first 2 shown]
	v_add_f64 v[82:83], v[74:75], v[52:53]
	v_add_f64 v[84:85], v[40:41], v[36:37]
	v_add_f64 v[86:87], v[74:75], -v[52:53]
	v_add_f64 v[88:89], v[40:41], -v[36:37]
	;; [unrolled: 1-line block ×4, first 2 shown]
	v_add_f64 v[28:29], v[28:29], v[44:45]
	v_add_f64 v[30:31], v[30:31], v[48:49]
	v_add_f64 v[74:75], v[42:43], -v[74:75]
	v_add_f64 v[40:41], v[32:33], -v[40:41]
	v_add_f64 v[42:43], v[82:83], v[42:43]
	v_add_f64 v[32:33], v[84:85], v[32:33]
	v_mul_f64 v[34:35], v[34:35], s[6:7]
	v_mul_f64 v[38:39], v[38:39], s[6:7]
	;; [unrolled: 1-line block ×8, first 2 shown]
	v_mov_b64_e32 v[90:91], v[28:29]
	v_mov_b64_e32 v[92:93], v[30:31]
	v_fmac_f64_e32 v[90:91], s[10:11], v[44:45]
	v_fmac_f64_e32 v[92:93], s[10:11], v[48:49]
	v_fma_f64 v[44:45], v[78:79], s[14:15], -v[54:55]
	v_fma_f64 v[48:49], v[80:81], s[14:15], -v[76:77]
	;; [unrolled: 1-line block ×3, first 2 shown]
	v_fmac_f64_e32 v[34:35], s[8:9], v[46:47]
	v_fma_f64 v[46:47], v[80:81], s[18:19], -v[38:39]
	v_fmac_f64_e32 v[38:39], s[8:9], v[50:51]
	v_fma_f64 v[50:51], v[52:53], s[2:3], -v[82:83]
	;; [unrolled: 2-line block ×4, first 2 shown]
	v_fma_f64 v[76:77], v[40:41], s[20:21], -v[88:89]
	v_add_f64 v[78:79], v[34:35], v[90:91]
	v_add_f64 v[80:81], v[38:39], v[92:93]
	;; [unrolled: 1-line block ×6, first 2 shown]
	v_fmac_f64_e32 v[82:83], s[16:17], v[42:43]
	v_fmac_f64_e32 v[84:85], s[16:17], v[32:33]
	;; [unrolled: 1-line block ×6, first 2 shown]
	v_add_f64 v[32:33], v[84:85], v[78:79]
	v_add_f64 v[34:35], v[80:81], -v[82:83]
	v_add_f64 v[36:37], v[76:77], v[54:55]
	v_add_f64 v[38:39], v[86:87], -v[74:75]
	v_add_f64 v[40:41], v[44:45], -v[52:53]
	v_add_f64 v[42:43], v[50:51], v[48:49]
	v_add_f64 v[44:45], v[52:53], v[44:45]
	v_add_f64 v[46:47], v[48:49], -v[50:51]
	v_add_f64 v[48:49], v[54:55], -v[76:77]
	v_add_f64 v[50:51], v[74:75], v[86:87]
	v_add_f64 v[52:53], v[78:79], -v[84:85]
	v_add_f64 v[54:55], v[82:83], v[80:81]
	ds_write_b128 v69, v[28:31]
	ds_write_b128 v69, v[32:35] offset:800
	ds_write_b128 v69, v[36:39] offset:1600
	;; [unrolled: 1-line block ×6, first 2 shown]
	s_and_saveexec_b64 s[24:25], vcc
	s_cbranch_execz .LBB0_17
; %bb.16:
	v_lshrrev_b16_e32 v28, 1, v60
	v_mul_u32_u24_e32 v28, 0x147b, v28
	v_lshrrev_b32_e32 v28, 17, v28
	v_mul_lo_u16_e32 v28, 50, v28
	v_sub_u16_e32 v69, v60, v28
	v_mul_u32_u24_e32 v28, 6, v69
	v_lshlrev_b32_e32 v52, 4, v28
	global_load_dwordx4 v[28:31], v52, s[4:5] offset:816
	global_load_dwordx4 v[32:35], v52, s[4:5] offset:800
	;; [unrolled: 1-line block ×6, first 2 shown]
	s_waitcnt vmcnt(5)
	v_mul_f64 v[52:53], v[18:19], v[30:31]
	s_waitcnt vmcnt(4)
	v_mul_f64 v[54:55], v[14:15], v[34:35]
	;; [unrolled: 2-line block ×6, first 2 shown]
	v_mul_f64 v[34:35], v[12:13], v[34:35]
	v_mul_f64 v[38:39], v[8:9], v[38:39]
	;; [unrolled: 1-line block ×6, first 2 shown]
	v_fmac_f64_e32 v[54:55], v[12:13], v[32:33]
	v_fmac_f64_e32 v[76:77], v[0:1], v[44:45]
	v_fma_f64 v[0:1], v[14:15], v[32:33], -v[34:35]
	v_fma_f64 v[10:11], v[10:11], v[36:37], -v[38:39]
	;; [unrolled: 1-line block ×5, first 2 shown]
	v_fmac_f64_e32 v[52:53], v[16:17], v[28:29]
	v_fmac_f64_e32 v[70:71], v[8:9], v[36:37]
	;; [unrolled: 1-line block ×4, first 2 shown]
	v_fma_f64 v[8:9], v[18:19], v[28:29], -v[30:31]
	v_add_f64 v[24:25], v[10:11], v[12:13]
	v_add_f64 v[26:27], v[2:3], v[14:15]
	v_add_f64 v[16:17], v[52:53], -v[54:55]
	v_add_f64 v[18:19], v[70:71], -v[74:75]
	;; [unrolled: 1-line block ×3, first 2 shown]
	v_add_f64 v[22:23], v[0:1], v[8:9]
	v_add_f64 v[28:29], v[54:55], v[52:53]
	;; [unrolled: 1-line block ×4, first 2 shown]
	v_add_f64 v[0:1], v[8:9], -v[0:1]
	v_add_f64 v[8:9], v[10:11], -v[12:13]
	v_add_f64 v[36:37], v[24:25], v[26:27]
	v_add_f64 v[12:13], v[2:3], -v[14:15]
	v_add_f64 v[2:3], v[16:17], v[18:19]
	v_add_f64 v[10:11], v[16:17], -v[18:19]
	v_add_f64 v[14:15], v[20:21], -v[16:17]
	;; [unrolled: 1-line block ×5, first 2 shown]
	v_add_f64 v[42:43], v[30:31], v[32:33]
	v_add_f64 v[44:45], v[0:1], v[8:9]
	v_add_f64 v[18:19], v[18:19], -v[20:21]
	v_add_f64 v[22:23], v[22:23], v[36:37]
	v_add_f64 v[38:39], v[28:29], -v[30:31]
	v_add_f64 v[46:47], v[0:1], -v[8:9]
	;; [unrolled: 1-line block ×4, first 2 shown]
	v_add_f64 v[20:21], v[2:3], v[20:21]
	v_mul_f64 v[30:31], v[10:11], s[12:13]
	v_mul_f64 v[36:37], v[40:41], s[6:7]
	v_add_f64 v[28:29], v[28:29], v[42:43]
	v_add_f64 v[40:41], v[44:45], v[12:13]
	v_mul_f64 v[44:45], v[18:19], s[2:3]
	v_add_f64 v[2:3], v[6:7], v[22:23]
	v_add_f64 v[48:49], v[12:13], -v[0:1]
	v_mul_f64 v[10:11], v[34:35], s[6:7]
	v_mul_f64 v[42:43], v[46:47], s[12:13]
	v_fma_f64 v[46:47], s[22:23], v[14:15], v[30:31]
	v_fma_f64 v[6:7], s[8:9], v[38:39], v[36:37]
	v_add_f64 v[0:1], v[4:5], v[28:29]
	v_fma_f64 v[44:45], v[14:15], s[20:21], -v[44:45]
	v_fma_f64 v[14:15], v[26:27], s[18:19], -v[36:37]
	v_mov_b64_e32 v[36:37], v[2:3]
	v_mul_f64 v[32:33], v[16:17], s[8:9]
	v_fma_f64 v[16:17], s[8:9], v[16:17], v[10:11]
	v_mov_b64_e32 v[50:51], v[0:1]
	v_fmac_f64_e32 v[36:37], s[10:11], v[22:23]
	v_mul_f64 v[34:35], v[38:39], s[8:9]
	v_fmac_f64_e32 v[46:47], s[16:17], v[20:21]
	v_fmac_f64_e32 v[50:51], s[10:11], v[28:29]
	v_add_f64 v[28:29], v[16:17], v[36:37]
	v_add_f64 v[12:13], v[8:9], -v[12:13]
	v_fma_f64 v[18:19], v[18:19], s[2:3], -v[30:31]
	v_fmac_f64_e32 v[44:45], s[16:17], v[20:21]
	v_add_f64 v[52:53], v[6:7], v[50:51]
	v_add_f64 v[6:7], v[46:47], v[28:29]
	v_mul_f64 v[8:9], v[12:13], s[2:3]
	v_fmac_f64_e32 v[18:19], s[16:17], v[20:21]
	v_fma_f64 v[20:21], v[12:13], s[2:3], -v[42:43]
	v_fma_f64 v[12:13], v[26:27], s[14:15], -v[34:35]
	v_add_f64 v[26:27], v[28:29], -v[46:47]
	v_mul_lo_u16_sdwa v28, v60, v72 dst_sel:DWORD dst_unused:UNUSED_PAD src0_sel:BYTE_0 src1_sel:DWORD
	v_lshrrev_b16_e32 v28, 11, v28
	v_fma_f64 v[38:39], s[22:23], v[48:49], v[42:43]
	v_fma_f64 v[4:5], v[24:25], s[18:19], -v[10:11]
	v_add_f64 v[54:55], v[14:15], v[50:51]
	v_fma_f64 v[48:49], v[48:49], s[20:21], -v[8:9]
	v_fma_f64 v[14:15], v[24:25], s[14:15], -v[32:33]
	v_mul_u32_u24_e32 v28, 0x15e0, v28
	v_lshlrev_b32_e32 v29, 4, v69
	v_fmac_f64_e32 v[38:39], s[16:17], v[40:41]
	v_add_f64 v[22:23], v[4:5], v[36:37]
	v_fmac_f64_e32 v[48:49], s[16:17], v[40:41]
	v_add_f64 v[16:17], v[14:15], v[36:37]
	;; [unrolled: 2-line block ×3, first 2 shown]
	v_add3_u32 v28, 0, v28, v29
	v_add_f64 v[4:5], v[52:53], -v[38:39]
	v_add_f64 v[10:11], v[44:45], v[22:23]
	v_add_f64 v[8:9], v[54:55], -v[48:49]
	v_add_f64 v[14:15], v[16:17], -v[18:19]
	v_add_f64 v[12:13], v[20:21], v[24:25]
	v_add_f64 v[18:19], v[18:19], v[16:17]
	v_add_f64 v[16:17], v[24:25], -v[20:21]
	v_add_f64 v[22:23], v[22:23], -v[44:45]
	v_add_f64 v[20:21], v[48:49], v[54:55]
	v_add_f64 v[24:25], v[38:39], v[52:53]
	ds_write_b128 v28, v[0:3]
	ds_write_b128 v28, v[24:27] offset:800
	ds_write_b128 v28, v[20:23] offset:1600
	ds_write_b128 v28, v[16:19] offset:2400
	ds_write_b128 v28, v[12:15] offset:3200
	ds_write_b128 v28, v[8:11] offset:4000
	ds_write_b128 v28, v[4:7] offset:4800
.LBB0_17:
	s_or_b64 exec, exec, s[24:25]
	v_lshlrev_b32_e32 v8, 2, v56
	v_mov_b32_e32 v9, 0
	v_lshl_add_u64 v[0:1], v[8:9], 4, s[4:5]
	s_movk_i32 s6, 0x1000
	s_mov_b64 s[2:3], 0x15c0
	v_add_co_u32_e32 v2, vcc, s6, v0
	v_lshlrev_b32_e32 v8, 2, v60
	s_nop 0
	v_addc_co_u32_e32 v3, vcc, 0, v1, vcc
	v_lshl_add_u64 v[0:1], v[0:1], 0, s[2:3]
	s_waitcnt lgkmcnt(0)
	s_barrier
	global_load_dwordx4 v[10:13], v[2:3], off offset:1472
	global_load_dwordx4 v[16:19], v[0:1], off offset:16
	;; [unrolled: 1-line block ×4, first 2 shown]
	v_lshl_add_u64 v[0:1], v[8:9], 4, s[4:5]
	v_add_co_u32_e32 v2, vcc, s6, v0
	v_add_u32_e32 v14, v61, v65
	s_nop 0
	v_addc_co_u32_e32 v3, vcc, 0, v1, vcc
	global_load_dwordx4 v[28:31], v[2:3], off offset:1472
	v_lshl_add_u64 v[0:1], v[0:1], 0, s[2:3]
	global_load_dwordx4 v[32:35], v[0:1], off offset:16
	global_load_dwordx4 v[36:39], v[0:1], off offset:32
	;; [unrolled: 1-line block ×3, first 2 shown]
	v_add_u32_e32 v8, v63, v68
	ds_read_b128 v[0:3], v67
	ds_read_b128 v[4:7], v66
	ds_read_b128 v[44:47], v66 offset:8400
	ds_read_b128 v[48:51], v66 offset:16800
	;; [unrolled: 1-line block ×5, first 2 shown]
	ds_read_b128 v[76:79], v14
	ds_read_b128 v[80:83], v8
	ds_read_b128 v[84:87], v66 offset:25200
	s_mov_b32 s6, 0x134454ff
	s_mov_b32 s7, 0xbfee6f0e
	;; [unrolled: 1-line block ×10, first 2 shown]
	s_waitcnt lgkmcnt(0)
	s_barrier
	v_sub_u32_e32 v15, 0, v57
	v_cmp_ne_u32_e32 vcc, 0, v56
	s_waitcnt vmcnt(6)
	v_mul_f64 v[90:91], v[82:83], v[18:19]
	v_mul_f64 v[88:89], v[78:79], v[12:13]
	;; [unrolled: 1-line block ×3, first 2 shown]
	s_waitcnt vmcnt(5)
	v_mul_f64 v[92:93], v[50:51], v[22:23]
	s_waitcnt vmcnt(4)
	v_mul_f64 v[94:95], v[70:71], v[26:27]
	v_mul_f64 v[18:19], v[80:81], v[18:19]
	;; [unrolled: 1-line block ×4, first 2 shown]
	v_fmac_f64_e32 v[88:89], v[76:77], v[10:11]
	v_fma_f64 v[76:77], v[78:79], v[10:11], -v[12:13]
	v_fmac_f64_e32 v[90:91], v[80:81], v[16:17]
	v_fmac_f64_e32 v[92:93], v[48:49], v[20:21]
	;; [unrolled: 1-line block ×3, first 2 shown]
	s_waitcnt vmcnt(3)
	v_mul_f64 v[68:69], v[46:47], v[30:31]
	v_mul_f64 v[10:11], v[44:45], v[30:31]
	s_waitcnt vmcnt(2)
	v_mul_f64 v[12:13], v[52:53], v[34:35]
	v_fma_f64 v[78:79], v[82:83], v[16:17], -v[18:19]
	v_fma_f64 v[48:49], v[50:51], v[20:21], -v[22:23]
	;; [unrolled: 1-line block ×3, first 2 shown]
	v_mul_f64 v[70:71], v[54:55], v[34:35]
	s_waitcnt vmcnt(1)
	v_mul_f64 v[16:17], v[72:73], v[38:39]
	s_waitcnt vmcnt(0)
	v_mul_f64 v[18:19], v[84:85], v[42:43]
	v_fmac_f64_e32 v[68:69], v[44:45], v[28:29]
	v_fma_f64 v[44:45], v[46:47], v[28:29], -v[10:11]
	v_fma_f64 v[46:47], v[54:55], v[32:33], -v[12:13]
	v_add_f64 v[10:11], v[4:5], v[88:89]
	v_add_f64 v[12:13], v[90:91], v[92:93]
	v_fmac_f64_e32 v[70:71], v[52:53], v[32:33]
	v_fma_f64 v[52:53], v[74:75], v[36:37], -v[16:17]
	v_fma_f64 v[54:55], v[86:87], v[40:41], -v[18:19]
	v_add_f64 v[18:19], v[76:77], -v[50:51]
	v_add_f64 v[16:17], v[10:11], v[90:91]
	v_fma_f64 v[10:11], -0.5, v[12:13], v[4:5]
	v_add_f64 v[22:23], v[78:79], -v[48:49]
	v_add_f64 v[24:25], v[88:89], -v[90:91]
	;; [unrolled: 1-line block ×3, first 2 shown]
	v_add_f64 v[12:13], v[16:17], v[92:93]
	v_fma_f64 v[16:17], s[6:7], v[18:19], v[10:11]
	v_fmac_f64_e32 v[10:11], s[10:11], v[18:19]
	v_add_f64 v[20:21], v[12:13], v[94:95]
	v_fmac_f64_e32 v[16:17], s[2:3], v[22:23]
	v_add_f64 v[12:13], v[24:25], v[26:27]
	v_fmac_f64_e32 v[10:11], s[12:13], v[22:23]
	v_fmac_f64_e32 v[16:17], s[8:9], v[12:13]
	;; [unrolled: 1-line block ×3, first 2 shown]
	v_add_f64 v[12:13], v[88:89], v[94:95]
	v_fmac_f64_e32 v[4:5], -0.5, v[12:13]
	v_fma_f64 v[24:25], s[10:11], v[22:23], v[4:5]
	v_add_f64 v[12:13], v[90:91], -v[88:89]
	v_add_f64 v[26:27], v[92:93], -v[94:95]
	v_fmac_f64_e32 v[4:5], s[6:7], v[22:23]
	v_fmac_f64_e32 v[24:25], s[2:3], v[18:19]
	v_add_f64 v[12:13], v[12:13], v[26:27]
	v_fmac_f64_e32 v[4:5], s[12:13], v[18:19]
	v_fmac_f64_e32 v[24:25], s[8:9], v[12:13]
	;; [unrolled: 1-line block ×3, first 2 shown]
	v_add_f64 v[12:13], v[6:7], v[76:77]
	v_add_f64 v[12:13], v[12:13], v[78:79]
	v_add_f64 v[12:13], v[12:13], v[48:49]
	v_add_f64 v[22:23], v[12:13], v[50:51]
	v_add_f64 v[12:13], v[78:79], v[48:49]
	v_fma_f64 v[12:13], -0.5, v[12:13], v[6:7]
	v_add_f64 v[28:29], v[88:89], -v[94:95]
	v_fma_f64 v[18:19], s[10:11], v[28:29], v[12:13]
	v_add_f64 v[30:31], v[90:91], -v[92:93]
	v_add_f64 v[26:27], v[76:77], -v[78:79]
	;; [unrolled: 1-line block ×3, first 2 shown]
	v_fmac_f64_e32 v[12:13], s[6:7], v[28:29]
	v_fmac_f64_e32 v[18:19], s[12:13], v[30:31]
	v_add_f64 v[26:27], v[26:27], v[32:33]
	v_fmac_f64_e32 v[12:13], s[2:3], v[30:31]
	v_fmac_f64_e32 v[18:19], s[8:9], v[26:27]
	v_fmac_f64_e32 v[12:13], s[8:9], v[26:27]
	v_add_f64 v[26:27], v[76:77], v[50:51]
	v_mul_f64 v[80:81], v[74:75], v[38:39]
	v_fmac_f64_e32 v[6:7], -0.5, v[26:27]
	v_fmac_f64_e32 v[80:81], v[72:73], v[36:37]
	v_fma_f64 v[26:27], s[6:7], v[30:31], v[6:7]
	v_add_f64 v[32:33], v[78:79], -v[76:77]
	v_add_f64 v[34:35], v[48:49], -v[50:51]
	v_fmac_f64_e32 v[6:7], s[10:11], v[30:31]
	v_mul_f64 v[38:39], v[86:87], v[42:43]
	v_fmac_f64_e32 v[26:27], s[12:13], v[28:29]
	v_add_f64 v[32:33], v[32:33], v[34:35]
	v_fmac_f64_e32 v[6:7], s[2:3], v[28:29]
	v_add_f64 v[30:31], v[70:71], v[80:81]
	v_fmac_f64_e32 v[38:39], v[84:85], v[40:41]
	v_fmac_f64_e32 v[26:27], s[8:9], v[32:33]
	;; [unrolled: 1-line block ×3, first 2 shown]
	v_fma_f64 v[32:33], -0.5, v[30:31], v[0:1]
	v_add_f64 v[30:31], v[44:45], -v[54:55]
	v_fma_f64 v[36:37], s[6:7], v[30:31], v[32:33]
	v_add_f64 v[34:35], v[46:47], -v[52:53]
	v_add_f64 v[40:41], v[68:69], -v[70:71]
	;; [unrolled: 1-line block ×3, first 2 shown]
	v_fmac_f64_e32 v[32:33], s[10:11], v[30:31]
	v_fmac_f64_e32 v[36:37], s[2:3], v[34:35]
	v_add_f64 v[40:41], v[40:41], v[42:43]
	v_fmac_f64_e32 v[32:33], s[12:13], v[34:35]
	v_fmac_f64_e32 v[36:37], s[8:9], v[40:41]
	;; [unrolled: 1-line block ×3, first 2 shown]
	v_add_f64 v[40:41], v[68:69], v[38:39]
	v_add_f64 v[28:29], v[0:1], v[68:69]
	v_fmac_f64_e32 v[0:1], -0.5, v[40:41]
	v_add_f64 v[28:29], v[28:29], v[70:71]
	v_fma_f64 v[40:41], s[10:11], v[34:35], v[0:1]
	v_add_f64 v[42:43], v[70:71], -v[68:69]
	v_add_f64 v[48:49], v[80:81], -v[38:39]
	v_fmac_f64_e32 v[0:1], s[6:7], v[34:35]
	v_add_f64 v[34:35], v[46:47], v[52:53]
	v_add_f64 v[28:29], v[28:29], v[80:81]
	v_fmac_f64_e32 v[40:41], s[2:3], v[30:31]
	v_add_f64 v[42:43], v[42:43], v[48:49]
	v_fmac_f64_e32 v[0:1], s[12:13], v[30:31]
	v_fma_f64 v[34:35], -0.5, v[34:35], v[2:3]
	v_add_f64 v[48:49], v[68:69], -v[38:39]
	v_add_f64 v[28:29], v[28:29], v[38:39]
	v_fmac_f64_e32 v[40:41], s[8:9], v[42:43]
	v_fmac_f64_e32 v[0:1], s[8:9], v[42:43]
	v_fma_f64 v[38:39], s[10:11], v[48:49], v[34:35]
	v_add_f64 v[50:51], v[70:71], -v[80:81]
	v_add_f64 v[42:43], v[44:45], -v[46:47]
	;; [unrolled: 1-line block ×3, first 2 shown]
	v_fmac_f64_e32 v[34:35], s[6:7], v[48:49]
	v_fmac_f64_e32 v[38:39], s[12:13], v[50:51]
	v_add_f64 v[42:43], v[42:43], v[68:69]
	v_fmac_f64_e32 v[34:35], s[2:3], v[50:51]
	v_fmac_f64_e32 v[38:39], s[8:9], v[42:43]
	;; [unrolled: 1-line block ×3, first 2 shown]
	v_add_f64 v[42:43], v[44:45], v[54:55]
	v_add_f64 v[30:31], v[2:3], v[44:45]
	v_fmac_f64_e32 v[2:3], -0.5, v[42:43]
	v_add_f64 v[30:31], v[30:31], v[46:47]
	v_fma_f64 v[42:43], s[6:7], v[50:51], v[2:3]
	v_add_f64 v[44:45], v[46:47], -v[44:45]
	v_add_f64 v[46:47], v[52:53], -v[54:55]
	v_fmac_f64_e32 v[2:3], s[10:11], v[50:51]
	v_add_f64 v[30:31], v[30:31], v[52:53]
	v_fmac_f64_e32 v[42:43], s[12:13], v[48:49]
	v_add_f64 v[44:45], v[44:45], v[46:47]
	;; [unrolled: 2-line block ×3, first 2 shown]
	v_fmac_f64_e32 v[42:43], s[8:9], v[44:45]
	v_fmac_f64_e32 v[2:3], s[8:9], v[44:45]
	ds_write_b128 v66, v[20:23]
	ds_write_b128 v66, v[16:19] offset:5600
	ds_write_b128 v66, v[24:27] offset:11200
	;; [unrolled: 1-line block ×4, first 2 shown]
	ds_write_b128 v67, v[28:31]
	ds_write_b128 v67, v[36:39] offset:5600
	ds_write_b128 v67, v[40:43] offset:11200
	;; [unrolled: 1-line block ×4, first 2 shown]
	s_waitcnt lgkmcnt(0)
	s_barrier
	ds_read_b128 v[4:7], v66
	s_add_u32 s2, s4, 0x6d40
	s_addc_u32 s3, s5, 0
                                        ; implicit-def: $vgpr0_vgpr1
                                        ; implicit-def: $vgpr10_vgpr11
                                        ; implicit-def: $vgpr12_vgpr13
	s_and_saveexec_b64 s[4:5], vcc
	s_xor_b64 s[4:5], exec, s[4:5]
	s_cbranch_execz .LBB0_19
; %bb.18:
	v_mov_b32_e32 v57, v9
	v_lshl_add_u64 v[0:1], v[56:57], 4, s[2:3]
	global_load_dwordx4 v[16:19], v[0:1], off
	ds_read_b128 v[0:3], v15 offset:28000
	s_waitcnt lgkmcnt(0)
	v_add_f64 v[20:21], v[4:5], v[0:1]
	v_add_f64 v[0:1], v[4:5], -v[0:1]
	v_add_f64 v[10:11], v[6:7], v[2:3]
	v_add_f64 v[2:3], v[6:7], -v[2:3]
	v_mul_f64 v[6:7], v[0:1], 0.5
	v_mul_f64 v[4:5], v[10:11], 0.5
	;; [unrolled: 1-line block ×3, first 2 shown]
	s_waitcnt vmcnt(0)
	v_mul_f64 v[2:3], v[6:7], v[18:19]
	v_fma_f64 v[12:13], v[4:5], v[18:19], v[0:1]
	v_fma_f64 v[18:19], v[4:5], v[18:19], -v[0:1]
	v_fma_f64 v[10:11], 0.5, v[20:21], v[2:3]
	v_fma_f64 v[0:1], v[20:21], 0.5, -v[2:3]
	v_fma_f64 v[12:13], -v[16:17], v[6:7], v[12:13]
	v_fmac_f64_e32 v[10:11], v[4:5], v[16:17]
	v_fma_f64 v[0:1], -v[4:5], v[16:17], v[0:1]
	v_fma_f64 v[2:3], -v[16:17], v[6:7], v[18:19]
                                        ; implicit-def: $vgpr4_vgpr5
.LBB0_19:
	s_andn2_saveexec_b64 s[4:5], s[4:5]
	s_cbranch_execz .LBB0_21
; %bb.20:
	v_mov_b32_e32 v9, 0
	ds_read_b64 v[2:3], v9 offset:14008
	v_mov_b64_e32 v[12:13], 0
	s_waitcnt lgkmcnt(1)
	v_add_f64 v[10:11], v[4:5], v[6:7]
	v_add_f64 v[0:1], v[4:5], -v[6:7]
	s_waitcnt lgkmcnt(0)
	v_xor_b32_e32 v3, 0x80000000, v3
	ds_write_b64 v9, v[2:3] offset:14008
	v_mov_b64_e32 v[2:3], v[12:13]
.LBB0_21:
	s_or_b64 exec, exec, s[4:5]
	v_mov_b32_e32 v61, 0
	s_waitcnt lgkmcnt(0)
	v_lshl_add_u64 v[4:5], v[60:61], 4, s[2:3]
	global_load_dwordx4 v[4:7], v[4:5], off
	v_mov_b32_e32 v65, v61
	v_lshl_add_u64 v[16:17], v[64:65], 4, s[2:3]
	global_load_dwordx4 v[16:19], v[16:17], off
	v_add_u32_e32 v60, 0x20d, v56
	v_lshl_add_u64 v[20:21], v[60:61], 4, s[2:3]
	global_load_dwordx4 v[20:23], v[20:21], off
	v_mov_b32_e32 v63, v61
	ds_write2_b64 v66, v[10:11], v[12:13] offset1:1
	ds_write_b128 v15, v[0:3] offset:28000
	v_lshl_add_u64 v[24:25], v[62:63], 4, s[2:3]
	ds_read_b128 v[0:3], v67
	ds_read_b128 v[10:13], v15 offset:25200
	global_load_dwordx4 v[24:27], v[24:25], off
	v_add_u32_e32 v9, 0x2000, v66
	s_waitcnt lgkmcnt(0)
	v_add_f64 v[28:29], v[0:1], v[10:11]
	v_add_f64 v[30:31], v[2:3], v[12:13]
	v_add_f64 v[0:1], v[0:1], -v[10:11]
	v_add_f64 v[2:3], v[2:3], -v[12:13]
	v_mul_f64 v[10:11], v[30:31], 0.5
	v_mul_f64 v[0:1], v[0:1], 0.5
	;; [unrolled: 1-line block ×3, first 2 shown]
	s_waitcnt vmcnt(3)
	v_mul_f64 v[12:13], v[0:1], v[6:7]
	v_fma_f64 v[30:31], v[10:11], v[6:7], v[2:3]
	v_fma_f64 v[2:3], v[10:11], v[6:7], -v[2:3]
	v_fma_f64 v[6:7], 0.5, v[28:29], v[12:13]
	v_fma_f64 v[30:31], -v[4:5], v[0:1], v[30:31]
	v_fma_f64 v[12:13], v[28:29], 0.5, -v[12:13]
	v_fma_f64 v[0:1], -v[4:5], v[0:1], v[2:3]
	v_fmac_f64_e32 v[6:7], v[10:11], v[4:5]
	ds_write_b64 v67, v[30:31] offset:8
	v_fma_f64 v[2:3], -v[10:11], v[4:5], v[12:13]
	ds_write_b64 v15, v[0:1] offset:25208
	ds_write_b64 v67, v[6:7]
	ds_write_b64 v15, v[2:3] offset:25200
	ds_read_b128 v[0:3], v14
	ds_read_b128 v[4:7], v15 offset:22400
	s_waitcnt lgkmcnt(0)
	v_add_f64 v[10:11], v[0:1], v[4:5]
	v_add_f64 v[12:13], v[2:3], v[6:7]
	v_add_f64 v[0:1], v[0:1], -v[4:5]
	v_add_f64 v[2:3], v[2:3], -v[6:7]
	v_mul_f64 v[4:5], v[12:13], 0.5
	v_mul_f64 v[0:1], v[0:1], 0.5
	;; [unrolled: 1-line block ×3, first 2 shown]
	s_waitcnt vmcnt(2)
	v_mul_f64 v[6:7], v[0:1], v[18:19]
	v_fma_f64 v[12:13], v[4:5], v[18:19], v[2:3]
	v_fma_f64 v[2:3], v[4:5], v[18:19], -v[2:3]
	v_fma_f64 v[18:19], 0.5, v[10:11], v[6:7]
	v_fma_f64 v[12:13], -v[16:17], v[0:1], v[12:13]
	v_fma_f64 v[6:7], v[10:11], 0.5, -v[6:7]
	v_fma_f64 v[0:1], -v[16:17], v[0:1], v[2:3]
	v_fmac_f64_e32 v[18:19], v[4:5], v[16:17]
	ds_write_b64 v14, v[12:13] offset:8
	v_fma_f64 v[2:3], -v[4:5], v[16:17], v[6:7]
	ds_write_b64 v15, v[0:1] offset:22408
	ds_write_b64 v14, v[18:19]
	ds_write_b64 v15, v[2:3] offset:22400
	ds_read_b128 v[0:3], v66 offset:8400
	ds_read_b128 v[4:7], v15 offset:19600
	s_waitcnt lgkmcnt(0)
	v_add_f64 v[10:11], v[0:1], v[4:5]
	v_add_f64 v[0:1], v[0:1], -v[4:5]
	v_add_f64 v[12:13], v[2:3], v[6:7]
	v_add_f64 v[2:3], v[2:3], -v[6:7]
	v_mul_f64 v[0:1], v[0:1], 0.5
	v_mul_f64 v[4:5], v[12:13], 0.5
	;; [unrolled: 1-line block ×3, first 2 shown]
	s_waitcnt vmcnt(1)
	v_mul_f64 v[6:7], v[0:1], v[22:23]
	v_fma_f64 v[12:13], v[4:5], v[22:23], v[2:3]
	v_fma_f64 v[16:17], 0.5, v[10:11], v[6:7]
	v_fma_f64 v[2:3], v[4:5], v[22:23], -v[2:3]
	v_fma_f64 v[12:13], -v[20:21], v[0:1], v[12:13]
	v_fma_f64 v[6:7], v[10:11], 0.5, -v[6:7]
	v_fmac_f64_e32 v[16:17], v[4:5], v[20:21]
	v_fma_f64 v[2:3], -v[20:21], v[0:1], v[2:3]
	v_fma_f64 v[0:1], -v[4:5], v[20:21], v[6:7]
	ds_write2_b64 v9, v[16:17], v[12:13] offset0:26 offset1:27
	ds_write_b128 v15, v[0:3] offset:19600
	ds_read_b128 v[0:3], v8
	ds_read_b128 v[4:7], v15 offset:16800
	s_waitcnt lgkmcnt(0)
	v_add_f64 v[10:11], v[0:1], v[4:5]
	v_add_f64 v[12:13], v[2:3], v[6:7]
	v_add_f64 v[0:1], v[0:1], -v[4:5]
	v_add_f64 v[2:3], v[2:3], -v[6:7]
	v_mul_f64 v[4:5], v[12:13], 0.5
	v_mul_f64 v[0:1], v[0:1], 0.5
	;; [unrolled: 1-line block ×3, first 2 shown]
	s_waitcnt vmcnt(0)
	v_mul_f64 v[6:7], v[0:1], v[26:27]
	v_fma_f64 v[12:13], v[4:5], v[26:27], v[2:3]
	v_fma_f64 v[2:3], v[4:5], v[26:27], -v[2:3]
	v_fma_f64 v[16:17], 0.5, v[10:11], v[6:7]
	v_fma_f64 v[12:13], -v[24:25], v[0:1], v[12:13]
	v_fma_f64 v[6:7], v[10:11], 0.5, -v[6:7]
	v_fma_f64 v[0:1], -v[24:25], v[0:1], v[2:3]
	v_fmac_f64_e32 v[16:17], v[4:5], v[24:25]
	ds_write_b64 v8, v[12:13] offset:8
	v_fma_f64 v[2:3], -v[4:5], v[24:25], v[6:7]
	ds_write_b64 v15, v[0:1] offset:16808
	ds_write_b64 v8, v[16:17]
	ds_write_b64 v15, v[2:3] offset:16800
	s_waitcnt lgkmcnt(0)
	s_barrier
	s_and_saveexec_b64 s[2:3], s[0:1]
	s_cbranch_execz .LBB0_24
; %bb.22:
	ds_read_b128 v[0:3], v66
	ds_read_b128 v[4:7], v66 offset:2800
	v_mov_b32_e32 v57, v61
	v_lshl_add_u64 v[8:9], v[56:57], 4, v[58:59]
	v_add_co_u32_e32 v10, vcc, 0x1000, v8
	s_waitcnt lgkmcnt(1)
	global_store_dwordx4 v[8:9], v[0:3], off
	s_waitcnt lgkmcnt(0)
	global_store_dwordx4 v[8:9], v[4:7], off offset:2800
	ds_read_b128 v[0:3], v66 offset:5600
	ds_read_b128 v[4:7], v66 offset:8400
	v_addc_co_u32_e32 v11, vcc, 0, v9, vcc
	s_movk_i32 s0, 0xae
	s_waitcnt lgkmcnt(1)
	global_store_dwordx4 v[10:11], v[0:3], off offset:1504
	v_add_co_u32_e32 v10, vcc, 0x2000, v8
	ds_read_b128 v[0:3], v66 offset:11200
	s_nop 0
	v_addc_co_u32_e32 v11, vcc, 0, v9, vcc
	s_waitcnt lgkmcnt(1)
	global_store_dwordx4 v[10:11], v[4:7], off offset:208
	ds_read_b128 v[4:7], v66 offset:14000
	s_waitcnt lgkmcnt(1)
	global_store_dwordx4 v[10:11], v[0:3], off offset:3008
	s_nop 1
	v_add_co_u32_e32 v0, vcc, 0x3000, v8
	s_nop 1
	v_addc_co_u32_e32 v1, vcc, 0, v9, vcc
	s_waitcnt lgkmcnt(0)
	global_store_dwordx4 v[0:1], v[4:7], off offset:1712
	ds_read_b128 v[0:3], v66 offset:16800
	ds_read_b128 v[4:7], v66 offset:19600
	v_add_co_u32_e32 v10, vcc, 0x4000, v8
	s_nop 1
	v_addc_co_u32_e32 v11, vcc, 0, v9, vcc
	s_waitcnt lgkmcnt(1)
	global_store_dwordx4 v[10:11], v[0:3], off offset:416
	s_waitcnt lgkmcnt(0)
	global_store_dwordx4 v[10:11], v[4:7], off offset:3216
	ds_read_b128 v[0:3], v66 offset:22400
	ds_read_b128 v[4:7], v66 offset:25200
	v_add_co_u32_e32 v10, vcc, 0x5000, v8
	s_nop 1
	v_addc_co_u32_e32 v11, vcc, 0, v9, vcc
	s_waitcnt lgkmcnt(1)
	global_store_dwordx4 v[10:11], v[0:3], off offset:1920
	s_nop 1
	v_add_co_u32_e32 v0, vcc, 0x6000, v8
	s_nop 1
	v_addc_co_u32_e32 v1, vcc, 0, v9, vcc
	v_cmp_eq_u32_e32 vcc, s0, v56
	s_waitcnt lgkmcnt(0)
	global_store_dwordx4 v[0:1], v[4:7], off offset:624
	s_and_b64 exec, exec, vcc
	s_cbranch_execz .LBB0_24
; %bb.23:
	v_mov_b32_e32 v0, 0
	ds_read_b128 v[0:3], v0 offset:28000
	v_add_co_u32_e32 v4, vcc, 0x6000, v58
	s_nop 1
	v_addc_co_u32_e32 v5, vcc, 0, v59, vcc
	s_waitcnt lgkmcnt(0)
	global_store_dwordx4 v[4:5], v[0:3], off offset:3424
.LBB0_24:
	s_endpgm
	.section	.rodata,"a",@progbits
	.p2align	6, 0x0
	.amdhsa_kernel fft_rtc_back_len1750_factors_2_5_5_7_5_wgs_175_tpt_175_halfLds_dp_ip_CI_unitstride_sbrr_R2C_dirReg
		.amdhsa_group_segment_fixed_size 0
		.amdhsa_private_segment_fixed_size 0
		.amdhsa_kernarg_size 88
		.amdhsa_user_sgpr_count 2
		.amdhsa_user_sgpr_dispatch_ptr 0
		.amdhsa_user_sgpr_queue_ptr 0
		.amdhsa_user_sgpr_kernarg_segment_ptr 1
		.amdhsa_user_sgpr_dispatch_id 0
		.amdhsa_user_sgpr_kernarg_preload_length 0
		.amdhsa_user_sgpr_kernarg_preload_offset 0
		.amdhsa_user_sgpr_private_segment_size 0
		.amdhsa_uses_dynamic_stack 0
		.amdhsa_enable_private_segment 0
		.amdhsa_system_sgpr_workgroup_id_x 1
		.amdhsa_system_sgpr_workgroup_id_y 0
		.amdhsa_system_sgpr_workgroup_id_z 0
		.amdhsa_system_sgpr_workgroup_info 0
		.amdhsa_system_vgpr_workitem_id 0
		.amdhsa_next_free_vgpr 111
		.amdhsa_next_free_sgpr 26
		.amdhsa_accum_offset 112
		.amdhsa_reserve_vcc 1
		.amdhsa_float_round_mode_32 0
		.amdhsa_float_round_mode_16_64 0
		.amdhsa_float_denorm_mode_32 3
		.amdhsa_float_denorm_mode_16_64 3
		.amdhsa_dx10_clamp 1
		.amdhsa_ieee_mode 1
		.amdhsa_fp16_overflow 0
		.amdhsa_tg_split 0
		.amdhsa_exception_fp_ieee_invalid_op 0
		.amdhsa_exception_fp_denorm_src 0
		.amdhsa_exception_fp_ieee_div_zero 0
		.amdhsa_exception_fp_ieee_overflow 0
		.amdhsa_exception_fp_ieee_underflow 0
		.amdhsa_exception_fp_ieee_inexact 0
		.amdhsa_exception_int_div_zero 0
	.end_amdhsa_kernel
	.text
.Lfunc_end0:
	.size	fft_rtc_back_len1750_factors_2_5_5_7_5_wgs_175_tpt_175_halfLds_dp_ip_CI_unitstride_sbrr_R2C_dirReg, .Lfunc_end0-fft_rtc_back_len1750_factors_2_5_5_7_5_wgs_175_tpt_175_halfLds_dp_ip_CI_unitstride_sbrr_R2C_dirReg
                                        ; -- End function
	.section	.AMDGPU.csdata,"",@progbits
; Kernel info:
; codeLenInByte = 9760
; NumSgprs: 32
; NumVgprs: 111
; NumAgprs: 0
; TotalNumVgprs: 111
; ScratchSize: 0
; MemoryBound: 0
; FloatMode: 240
; IeeeMode: 1
; LDSByteSize: 0 bytes/workgroup (compile time only)
; SGPRBlocks: 3
; VGPRBlocks: 13
; NumSGPRsForWavesPerEU: 32
; NumVGPRsForWavesPerEU: 111
; AccumOffset: 112
; Occupancy: 4
; WaveLimiterHint : 1
; COMPUTE_PGM_RSRC2:SCRATCH_EN: 0
; COMPUTE_PGM_RSRC2:USER_SGPR: 2
; COMPUTE_PGM_RSRC2:TRAP_HANDLER: 0
; COMPUTE_PGM_RSRC2:TGID_X_EN: 1
; COMPUTE_PGM_RSRC2:TGID_Y_EN: 0
; COMPUTE_PGM_RSRC2:TGID_Z_EN: 0
; COMPUTE_PGM_RSRC2:TIDIG_COMP_CNT: 0
; COMPUTE_PGM_RSRC3_GFX90A:ACCUM_OFFSET: 27
; COMPUTE_PGM_RSRC3_GFX90A:TG_SPLIT: 0
	.text
	.p2alignl 6, 3212836864
	.fill 256, 4, 3212836864
	.type	__hip_cuid_882bdab4a3c4bfeb,@object ; @__hip_cuid_882bdab4a3c4bfeb
	.section	.bss,"aw",@nobits
	.globl	__hip_cuid_882bdab4a3c4bfeb
__hip_cuid_882bdab4a3c4bfeb:
	.byte	0                               ; 0x0
	.size	__hip_cuid_882bdab4a3c4bfeb, 1

	.ident	"AMD clang version 19.0.0git (https://github.com/RadeonOpenCompute/llvm-project roc-6.4.0 25133 c7fe45cf4b819c5991fe208aaa96edf142730f1d)"
	.section	".note.GNU-stack","",@progbits
	.addrsig
	.addrsig_sym __hip_cuid_882bdab4a3c4bfeb
	.amdgpu_metadata
---
amdhsa.kernels:
  - .agpr_count:     0
    .args:
      - .actual_access:  read_only
        .address_space:  global
        .offset:         0
        .size:           8
        .value_kind:     global_buffer
      - .offset:         8
        .size:           8
        .value_kind:     by_value
      - .actual_access:  read_only
        .address_space:  global
        .offset:         16
        .size:           8
        .value_kind:     global_buffer
      - .actual_access:  read_only
        .address_space:  global
        .offset:         24
        .size:           8
        .value_kind:     global_buffer
      - .offset:         32
        .size:           8
        .value_kind:     by_value
      - .actual_access:  read_only
        .address_space:  global
        .offset:         40
        .size:           8
        .value_kind:     global_buffer
      - .actual_access:  read_only
        .address_space:  global
        .offset:         48
        .size:           8
        .value_kind:     global_buffer
      - .offset:         56
        .size:           4
        .value_kind:     by_value
      - .actual_access:  read_only
        .address_space:  global
        .offset:         64
        .size:           8
        .value_kind:     global_buffer
      - .actual_access:  read_only
        .address_space:  global
        .offset:         72
        .size:           8
        .value_kind:     global_buffer
      - .address_space:  global
        .offset:         80
        .size:           8
        .value_kind:     global_buffer
    .group_segment_fixed_size: 0
    .kernarg_segment_align: 8
    .kernarg_segment_size: 88
    .language:       OpenCL C
    .language_version:
      - 2
      - 0
    .max_flat_workgroup_size: 175
    .name:           fft_rtc_back_len1750_factors_2_5_5_7_5_wgs_175_tpt_175_halfLds_dp_ip_CI_unitstride_sbrr_R2C_dirReg
    .private_segment_fixed_size: 0
    .sgpr_count:     32
    .sgpr_spill_count: 0
    .symbol:         fft_rtc_back_len1750_factors_2_5_5_7_5_wgs_175_tpt_175_halfLds_dp_ip_CI_unitstride_sbrr_R2C_dirReg.kd
    .uniform_work_group_size: 1
    .uses_dynamic_stack: false
    .vgpr_count:     111
    .vgpr_spill_count: 0
    .wavefront_size: 64
amdhsa.target:   amdgcn-amd-amdhsa--gfx950
amdhsa.version:
  - 1
  - 2
...

	.end_amdgpu_metadata
